;; amdgpu-corpus repo=triton-lang/triton kind=triton arch=gfx1201 opt=O3 lang=triton
	.amdgcn_target "amdgcn-amd-amdhsa--gfx1201"
	.amdhsa_code_object_version 5
	.text
	.globl	kernel_up                       ; -- Begin function kernel_up
	.p2align	8
	.type	kernel_up,@function
kernel_up:                              ; @kernel_up
.Lfunc_begin0:
	.file	1 "/root/src/amdgpu-assembly/repos/triton-lang__triton-aot" "row_increment_pipelined.py"
	.loc	1 8 0                           ; row_increment_pipelined.py:8:0
	.cfi_sections .debug_frame
	.cfi_startproc
; %bb.0:
	s_load_b32 s7, s[0:1], 0x18
.Ltmp0:
	.loc	1 13 49 prologue_end            ; row_increment_pipelined.py:13:49
	s_wait_kmcnt 0x0
	s_cmp_lt_i32 s7, 1
	s_cbranch_scc1 .LBB0_3
; %bb.1:                                ; %.lr.ph
	.loc	1 0 49 is_stmt 0                ; row_increment_pipelined.py:0:49
	s_load_b32 s6, s[0:1], 0x1c
	.loc	1 11 31 is_stmt 1               ; row_increment_pipelined.py:11:31
	v_and_b32_e32 v0, 31, v0
	s_bfe_u32 s2, ttmp8, 0x50019
	.loc	1 10 31                         ; row_increment_pipelined.py:10:31
	s_clause 0x2
	s_load_b128 s[8:11], s[0:1], 0x0
	s_load_b64 s[12:13], s[0:1], 0x10
	s_load_b32 s20, s[0:1], 0x30
	.loc	1 11 31                         ; row_increment_pipelined.py:11:31
	s_lshl_b32 s2, s2, 5
	s_mov_b32 s16, 0
	v_and_or_b32 v0, 0xe0, s2, v0
	s_mov_b32 s15, 0x31027000
	s_mov_b32 s14, 0x7ffffffe
	;; [unrolled: 1-line block ×4, first 2 shown]
	v_or_b32_e32 v1, 0x100, v0
	v_or_b32_e32 v2, 0x200, v0
	;; [unrolled: 1-line block ×4, first 2 shown]
	v_lshlrev_b32_e32 v7, 2, v0
	v_or_b32_e32 v5, 0x500, v0
	v_or_b32_e32 v6, 0x600, v0
	;; [unrolled: 1-line block ×3, first 2 shown]
	v_lshlrev_b32_e32 v10, 2, v2
	.loc	1 12 25                         ; row_increment_pipelined.py:12:25
	s_wait_kmcnt 0x0
	v_cmp_gt_i32_e32 vcc_lo, s6, v0
	v_lshlrev_b32_e32 v9, 2, v1
	v_cmp_gt_i32_e64 s0, s6, v1
	v_cmp_gt_i32_e64 s1, s6, v2
	;; [unrolled: 1-line block ×3, first 2 shown]
	v_cndmask_b32_e32 v0, 0x80000000, v7, vcc_lo
	v_lshlrev_b32_e32 v7, 2, v3
	v_cndmask_b32_e64 v1, 0x80000000, v9, s0
	v_lshlrev_b32_e32 v9, 2, v4
	v_cmp_gt_i32_e64 s3, s6, v4
	v_cndmask_b32_e64 v2, 0x80000000, v10, s1
	s_wait_alu depctr_va_sdst(0)
	v_cndmask_b32_e64 v3, 0x80000000, v7, s2
	v_lshlrev_b32_e32 v7, 2, v5
	v_lshlrev_b32_e32 v10, 2, v8
	v_cndmask_b32_e64 v4, 0x80000000, v9, s3
	v_lshlrev_b32_e32 v9, 2, v6
	v_cmp_gt_i32_e64 s4, s6, v5
	v_cmp_gt_i32_e64 s5, s6, v6
	;; [unrolled: 1-line block ×3, first 2 shown]
	.loc	1 13 49                         ; row_increment_pipelined.py:13:49
	s_mul_i32 s21, s20, s13
	s_mul_i32 s22, s20, s12
	v_cndmask_b32_e64 v5, 0x80000000, v7, s4
	v_cndmask_b32_e64 v6, 0x80000000, v9, s5
	s_wait_alu depctr_va_sdst(0)
	v_cndmask_b32_e64 v7, 0x80000000, v10, s6
.LBB0_2:                                ; =>This Inner Loop Header: Depth=1
	.loc	1 14 36                         ; row_increment_pipelined.py:14:36
	s_ashr_i32 s17, s16, 31
	.loc	1 18 44                         ; row_increment_pipelined.py:18:44
	s_ashr_i32 s19, s18, 31
	.loc	1 14 36                         ; row_increment_pipelined.py:14:36
	s_lshl_b64 s[12:13], s[16:17], 2
	.loc	1 13 49                         ; row_increment_pipelined.py:13:49
	s_add_co_i32 s23, s23, s20
	.loc	1 14 36                         ; row_increment_pipelined.py:14:36
	s_add_nc_u64 s[12:13], s[10:11], s[12:13]
	.loc	1 13 49                         ; row_increment_pipelined.py:13:49
	s_add_co_i32 s16, s16, s22
	.loc	1 16 22                         ; row_increment_pipelined.py:16:22
	s_and_b32 s13, s13, 0xffff
	s_clause 0x7
	buffer_load_b32 v8, v0, s[12:15], null offen
	buffer_load_b32 v9, v1, s[12:15], null offen
	;; [unrolled: 1-line block ×8, first 2 shown]
	.loc	1 18 44                         ; row_increment_pipelined.py:18:44
	s_lshl_b64 s[12:13], s[18:19], 2
	.loc	1 13 49                         ; row_increment_pipelined.py:13:49
	s_add_co_i32 s18, s18, s21
	.loc	1 18 44                         ; row_increment_pipelined.py:18:44
	s_add_nc_u64 s[12:13], s[8:9], s[12:13]
	s_delay_alu instid0(SALU_CYCLE_1)
	.loc	1 20 30                         ; row_increment_pipelined.py:20:30
	s_and_b32 s13, s13, 0xffff
	.loc	1 13 49                         ; row_increment_pipelined.py:13:49
	s_cmp_lt_i32 s23, s7
	.loc	1 17 15                         ; row_increment_pipelined.py:17:15
	s_wait_loadcnt 0x6
	v_dual_add_f32 v8, 1.0, v8 :: v_dual_add_f32 v9, 1.0, v9
	s_wait_loadcnt 0x4
	v_dual_add_f32 v10, 1.0, v10 :: v_dual_add_f32 v11, 1.0, v11
	;; [unrolled: 2-line block ×4, first 2 shown]
	.loc	1 16 22                         ; row_increment_pipelined.py:16:22
	v_cndmask_b32_e32 v8, 0xff800000, v8, vcc_lo
	v_cndmask_b32_e64 v9, 0xff800000, v9, s0
	v_cndmask_b32_e64 v10, 0xff800000, v10, s1
	;; [unrolled: 1-line block ×7, first 2 shown]
	.loc	1 20 30                         ; row_increment_pipelined.py:20:30
	s_clause 0x7
	buffer_store_b32 v8, v0, s[12:15], null offen
	buffer_store_b32 v9, v1, s[12:15], null offen
	;; [unrolled: 1-line block ×8, first 2 shown]
	.loc	1 13 49                         ; row_increment_pipelined.py:13:49
	s_cbranch_scc1 .LBB0_2
.LBB0_3:                                ; %._crit_edge
	.loc	1 13 4 is_stmt 0                ; row_increment_pipelined.py:13:4
	s_endpgm
.Ltmp1:
	.section	.rodata,"a",@progbits
	.p2align	6, 0x0
	.amdhsa_kernel kernel_up
		.amdhsa_group_segment_fixed_size 0
		.amdhsa_private_segment_fixed_size 0
		.amdhsa_kernarg_size 304
		.amdhsa_user_sgpr_count 2
		.amdhsa_user_sgpr_dispatch_ptr 0
		.amdhsa_user_sgpr_queue_ptr 0
		.amdhsa_user_sgpr_kernarg_segment_ptr 1
		.amdhsa_user_sgpr_dispatch_id 0
		.amdhsa_user_sgpr_private_segment_size 0
		.amdhsa_wavefront_size32 1
		.amdhsa_uses_dynamic_stack 0
		.amdhsa_enable_private_segment 0
		.amdhsa_system_sgpr_workgroup_id_x 1
		.amdhsa_system_sgpr_workgroup_id_y 1
		.amdhsa_system_sgpr_workgroup_id_z 1
		.amdhsa_system_sgpr_workgroup_info 0
		.amdhsa_system_vgpr_workitem_id 0
		.amdhsa_next_free_vgpr 16
		.amdhsa_next_free_sgpr 24
		.amdhsa_reserve_vcc 1
		.amdhsa_float_round_mode_32 0
		.amdhsa_float_round_mode_16_64 0
		.amdhsa_float_denorm_mode_32 3
		.amdhsa_float_denorm_mode_16_64 3
		.amdhsa_fp16_overflow 0
		.amdhsa_workgroup_processor_mode 1
		.amdhsa_memory_ordered 1
		.amdhsa_forward_progress 1
		.amdhsa_inst_pref_size 7
		.amdhsa_round_robin_scheduling 0
		.amdhsa_exception_fp_ieee_invalid_op 0
		.amdhsa_exception_fp_denorm_src 0
		.amdhsa_exception_fp_ieee_div_zero 0
		.amdhsa_exception_fp_ieee_overflow 0
		.amdhsa_exception_fp_ieee_underflow 0
		.amdhsa_exception_fp_ieee_inexact 0
		.amdhsa_exception_int_div_zero 0
	.end_amdhsa_kernel
	.text
.Lfunc_end0:
	.size	kernel_up, .Lfunc_end0-kernel_up
	.cfi_endproc
                                        ; -- End function
	.set kernel_up.num_vgpr, 16
	.set kernel_up.num_agpr, 0
	.set kernel_up.numbered_sgpr, 24
	.set kernel_up.num_named_barrier, 0
	.set kernel_up.private_seg_size, 0
	.set kernel_up.uses_vcc, 1
	.set kernel_up.uses_flat_scratch, 0
	.set kernel_up.has_dyn_sized_stack, 0
	.set kernel_up.has_recursion, 0
	.set kernel_up.has_indirect_call, 0
	.section	.AMDGPU.csdata,"",@progbits
; Kernel info:
; codeLenInByte = 780
; TotalNumSgprs: 26
; NumVgprs: 16
; ScratchSize: 0
; MemoryBound: 0
; FloatMode: 240
; IeeeMode: 1
; LDSByteSize: 0 bytes/workgroup (compile time only)
; SGPRBlocks: 0
; VGPRBlocks: 1
; NumSGPRsForWavesPerEU: 26
; NumVGPRsForWavesPerEU: 16
; Occupancy: 16
; WaveLimiterHint : 0
; COMPUTE_PGM_RSRC2:SCRATCH_EN: 0
; COMPUTE_PGM_RSRC2:USER_SGPR: 2
; COMPUTE_PGM_RSRC2:TRAP_HANDLER: 0
; COMPUTE_PGM_RSRC2:TGID_X_EN: 1
; COMPUTE_PGM_RSRC2:TGID_Y_EN: 1
; COMPUTE_PGM_RSRC2:TGID_Z_EN: 1
; COMPUTE_PGM_RSRC2:TIDIG_COMP_CNT: 0
	.text
	.p2alignl 7, 3214868480
	.fill 96, 4, 3214868480
	.section	.AMDGPU.gpr_maximums,"",@progbits
	.set amdgpu.max_num_vgpr, 0
	.set amdgpu.max_num_agpr, 0
	.set amdgpu.max_num_sgpr, 0
	.set amdgpu.max_num_named_barrier, 0
	.text
	.section	.debug_abbrev,"",@progbits
	.byte	1                               ; Abbreviation Code
	.byte	17                              ; DW_TAG_compile_unit
	.byte	0                               ; DW_CHILDREN_no
	.byte	37                              ; DW_AT_producer
	.byte	14                              ; DW_FORM_strp
	.byte	19                              ; DW_AT_language
	.byte	5                               ; DW_FORM_data2
	.byte	3                               ; DW_AT_name
	.byte	14                              ; DW_FORM_strp
	.byte	16                              ; DW_AT_stmt_list
	.byte	23                              ; DW_FORM_sec_offset
	.byte	27                              ; DW_AT_comp_dir
	.byte	14                              ; DW_FORM_strp
	.byte	17                              ; DW_AT_low_pc
	.byte	1                               ; DW_FORM_addr
	.byte	18                              ; DW_AT_high_pc
	.byte	6                               ; DW_FORM_data4
	.byte	0                               ; EOM(1)
	.byte	0                               ; EOM(2)
	;; [unrolled: 1-line block ×3, first 2 shown]
	.section	.debug_info,"",@progbits
.Lcu_begin0:
	.long	.Ldebug_info_end0-.Ldebug_info_start0 ; Length of Unit
.Ldebug_info_start0:
	.short	4                               ; DWARF version number
	.long	.debug_abbrev                   ; Offset Into Abbrev. Section
	.byte	8                               ; Address Size (in bytes)
	.byte	1                               ; Abbrev [1] 0xb:0x1f DW_TAG_compile_unit
	.long	.Linfo_string0                  ; DW_AT_producer
	.short	2                               ; DW_AT_language
	.long	.Linfo_string1                  ; DW_AT_name
	.long	.Lline_table_start0             ; DW_AT_stmt_list
	.long	.Linfo_string2                  ; DW_AT_comp_dir
	.quad	.Lfunc_begin0                   ; DW_AT_low_pc
	.long	.Lfunc_end0-.Lfunc_begin0       ; DW_AT_high_pc
.Ldebug_info_end0:
	.section	.debug_str,"MS",@progbits,1
.Linfo_string0:
	.asciz	"triton"                        ; string offset=0
.Linfo_string1:
	.asciz	"row_increment_pipelined.py"    ; string offset=7
.Linfo_string2:
	.asciz	"/root/src/amdgpu-assembly/repos/triton-lang__triton-aot" ; string offset=34
	.section	".note.GNU-stack","",@progbits
	.amdgpu_metadata
---
amdhsa.kernels:
  - .args:
      - .address_space:  global
        .offset:         0
        .size:           8
        .value_kind:     global_buffer
      - .address_space:  global
        .offset:         8
        .size:           8
        .value_kind:     global_buffer
      - .offset:         16
        .size:           4
        .value_kind:     by_value
      - .offset:         20
        .size:           4
        .value_kind:     by_value
      - .offset:         24
        .size:           4
        .value_kind:     by_value
      - .offset:         28
        .size:           4
        .value_kind:     by_value
      - .address_space:  global
        .offset:         32
        .size:           8
        .value_kind:     global_buffer
      - .address_space:  global
        .offset:         40
        .size:           8
        .value_kind:     global_buffer
      - .offset:         48
        .size:           4
        .value_kind:     hidden_block_count_x
      - .offset:         52
        .size:           4
        .value_kind:     hidden_block_count_y
      - .offset:         56
        .size:           4
        .value_kind:     hidden_block_count_z
      - .offset:         60
        .size:           2
        .value_kind:     hidden_group_size_x
      - .offset:         62
        .size:           2
        .value_kind:     hidden_group_size_y
      - .offset:         64
        .size:           2
        .value_kind:     hidden_group_size_z
      - .offset:         66
        .size:           2
        .value_kind:     hidden_remainder_x
      - .offset:         68
        .size:           2
        .value_kind:     hidden_remainder_y
      - .offset:         70
        .size:           2
        .value_kind:     hidden_remainder_z
      - .offset:         88
        .size:           8
        .value_kind:     hidden_global_offset_x
      - .offset:         96
        .size:           8
        .value_kind:     hidden_global_offset_y
      - .offset:         104
        .size:           8
        .value_kind:     hidden_global_offset_z
      - .offset:         112
        .size:           2
        .value_kind:     hidden_grid_dims
    .group_segment_fixed_size: 0
    .kernarg_segment_align: 8
    .kernarg_segment_size: 304
    .max_flat_workgroup_size: 256
    .name:           kernel_up
    .private_segment_fixed_size: 0
    .sgpr_count:     26
    .sgpr_spill_count: 0
    .symbol:         kernel_up.kd
    .uniform_work_group_size: 1
    .uses_dynamic_stack: false
    .vgpr_count:     16
    .vgpr_spill_count: 0
    .wavefront_size: 32
    .workgroup_processor_mode: 1
amdhsa.target:   amdgcn-amd-amdhsa--gfx1201
amdhsa.version:
  - 1
  - 2
...

	.end_amdgpu_metadata
	.section	.debug_line,"",@progbits
.Lline_table_start0:
